;; amdgpu-corpus repo=ROCm/rocFFT kind=compiled arch=gfx906 opt=O3
	.text
	.amdgcn_target "amdgcn-amd-amdhsa--gfx906"
	.amdhsa_code_object_version 6
	.protected	fft_rtc_fwd_len81_factors_3_9_3_wgs_189_tpt_9_dim3_dp_ip_CI_sbcc_twdbase8_3step ; -- Begin function fft_rtc_fwd_len81_factors_3_9_3_wgs_189_tpt_9_dim3_dp_ip_CI_sbcc_twdbase8_3step
	.globl	fft_rtc_fwd_len81_factors_3_9_3_wgs_189_tpt_9_dim3_dp_ip_CI_sbcc_twdbase8_3step
	.p2align	8
	.type	fft_rtc_fwd_len81_factors_3_9_3_wgs_189_tpt_9_dim3_dp_ip_CI_sbcc_twdbase8_3step,@function
fft_rtc_fwd_len81_factors_3_9_3_wgs_189_tpt_9_dim3_dp_ip_CI_sbcc_twdbase8_3step: ; @fft_rtc_fwd_len81_factors_3_9_3_wgs_189_tpt_9_dim3_dp_ip_CI_sbcc_twdbase8_3step
; %bb.0:
	s_load_dwordx4 s[0:3], s[4:5], 0x10
	s_mov_b32 s7, 0
	s_mov_b64 s[20:21], 0
	s_waitcnt lgkmcnt(0)
	s_load_dwordx2 s[14:15], s[0:1], 0x8
	s_waitcnt lgkmcnt(0)
	s_add_u32 s8, s14, -1
	s_addc_u32 s9, s15, -1
	s_add_u32 s10, 0, 0x30c26c00
	s_addc_u32 s11, 0, 44
	s_mul_hi_u32 s13, s10, 0xffffffeb
	s_add_i32 s11, s11, 0xc30c2e0
	s_sub_i32 s13, s13, s10
	s_mul_i32 s18, s11, 0xffffffeb
	s_mul_i32 s12, s10, 0xffffffeb
	s_add_i32 s13, s13, s18
	s_mul_hi_u32 s16, s11, s12
	s_mul_i32 s17, s11, s12
	s_mul_i32 s19, s10, s13
	s_mul_hi_u32 s12, s10, s12
	s_mul_hi_u32 s18, s10, s13
	s_add_u32 s12, s12, s19
	s_addc_u32 s18, 0, s18
	s_add_u32 s12, s12, s17
	s_mul_hi_u32 s19, s11, s13
	s_addc_u32 s12, s18, s16
	s_addc_u32 s16, s19, 0
	s_mul_i32 s13, s11, s13
	s_add_u32 s12, s12, s13
	v_mov_b32_e32 v1, s12
	s_addc_u32 s13, 0, s16
	v_add_co_u32_e32 v1, vcc, s10, v1
	s_cmp_lg_u64 vcc, 0
	s_addc_u32 s10, s11, s13
	v_readfirstlane_b32 s13, v1
	s_mul_i32 s12, s8, s10
	s_mul_hi_u32 s16, s8, s13
	s_mul_hi_u32 s11, s8, s10
	s_add_u32 s12, s16, s12
	s_addc_u32 s11, 0, s11
	s_mul_hi_u32 s17, s9, s13
	s_mul_i32 s13, s9, s13
	s_add_u32 s12, s12, s13
	s_mul_hi_u32 s16, s9, s10
	s_addc_u32 s11, s11, s17
	s_addc_u32 s12, s16, 0
	s_mul_i32 s10, s9, s10
	s_add_u32 s10, s11, s10
	s_addc_u32 s11, 0, s12
	s_add_u32 s12, s10, 1
	s_addc_u32 s13, s11, 0
	s_add_u32 s16, s10, 2
	s_mul_i32 s18, s11, 21
	s_mul_hi_u32 s19, s10, 21
	s_addc_u32 s17, s11, 0
	s_add_i32 s19, s19, s18
	s_mul_i32 s18, s10, 21
	v_mov_b32_e32 v1, s18
	v_sub_co_u32_e32 v1, vcc, s8, v1
	s_cmp_lg_u64 vcc, 0
	s_subb_u32 s8, s9, s19
	v_subrev_co_u32_e32 v2, vcc, 21, v1
	s_cmp_lg_u64 vcc, 0
	s_subb_u32 s9, s8, 0
	v_readfirstlane_b32 s18, v2
	s_cmp_gt_u32 s18, 20
	s_cselect_b32 s18, -1, 0
	s_cmp_eq_u32 s9, 0
	s_cselect_b32 s9, s18, -1
	s_cmp_lg_u32 s9, 0
	s_cselect_b32 s9, s16, s12
	s_cselect_b32 s12, s17, s13
	v_readfirstlane_b32 s13, v1
	s_cmp_gt_u32 s13, 20
	s_cselect_b32 s13, -1, 0
	s_cmp_eq_u32 s8, 0
	s_cselect_b32 s8, s13, -1
	s_cmp_lg_u32 s8, 0
	s_cselect_b32 s9, s9, s10
	s_cselect_b32 s8, s12, s11
	s_add_u32 s18, s9, 1
	s_addc_u32 s19, s8, 0
	v_mov_b32_e32 v1, s18
	v_mov_b32_e32 v2, s19
	v_cmp_lt_u64_e32 vcc, s[6:7], v[1:2]
	s_cbranch_vccnz .LBB0_2
; %bb.1:
	v_cvt_f32_u32_e32 v1, s18
	s_sub_i32 s8, 0, s18
	s_mov_b32 s21, s7
	v_rcp_iflag_f32_e32 v1, v1
	v_mul_f32_e32 v1, 0x4f7ffffe, v1
	v_cvt_u32_f32_e32 v1, v1
	v_readfirstlane_b32 s9, v1
	s_mul_i32 s8, s8, s9
	s_mul_hi_u32 s8, s9, s8
	s_add_i32 s9, s9, s8
	s_mul_hi_u32 s8, s6, s9
	s_mul_i32 s10, s8, s18
	s_sub_i32 s10, s6, s10
	s_add_i32 s9, s8, 1
	s_sub_i32 s11, s10, s18
	s_cmp_ge_u32 s10, s18
	s_cselect_b32 s8, s9, s8
	s_cselect_b32 s10, s11, s10
	s_add_i32 s9, s8, 1
	s_cmp_ge_u32 s10, s18
	s_cselect_b32 s20, s9, s8
.LBB0_2:
	s_load_dwordx2 s[8:9], s[0:1], 0x10
	s_load_dwordx2 s[10:11], s[2:3], 0x8
	s_mov_b64 s[0:1], s[20:21]
	s_waitcnt lgkmcnt(0)
	v_mov_b32_e32 v1, s8
	v_mov_b32_e32 v2, s9
	v_cmp_lt_u64_e32 vcc, s[20:21], v[1:2]
	s_cbranch_vccnz .LBB0_4
; %bb.3:
	v_cvt_f32_u32_e32 v1, s8
	s_sub_i32 s0, 0, s8
	v_rcp_iflag_f32_e32 v1, v1
	v_mul_f32_e32 v1, 0x4f7ffffe, v1
	v_cvt_u32_f32_e32 v1, v1
	v_readfirstlane_b32 s1, v1
	s_mul_i32 s0, s0, s1
	s_mul_hi_u32 s0, s1, s0
	s_add_i32 s1, s1, s0
	s_mul_hi_u32 s0, s20, s1
	s_mul_i32 s0, s0, s8
	s_sub_i32 s0, s20, s0
	s_sub_i32 s1, s0, s8
	s_cmp_ge_u32 s0, s8
	s_cselect_b32 s0, s1, s0
	s_sub_i32 s1, s0, s8
	s_cmp_ge_u32 s0, s8
	s_cselect_b32 s0, s1, s0
.LBB0_4:
	s_mul_i32 s1, s8, s19
	s_mul_hi_u32 s21, s8, s18
	s_add_i32 s1, s21, s1
	s_mul_i32 s9, s9, s18
	s_mul_i32 s26, s8, s18
	s_load_dwordx2 s[12:13], s[4:5], 0x50
	s_load_dwordx2 s[16:17], s[4:5], 0x0
	s_add_i32 s27, s1, s9
	s_load_dwordx2 s[8:9], s[2:3], 0x0
	s_load_dwordx2 s[22:23], s[2:3], 0x10
	v_mov_b32_e32 v1, s26
	v_mov_b32_e32 v2, s27
	v_cmp_lt_u64_e32 vcc, s[6:7], v[1:2]
	s_mov_b64 s[24:25], 0
	s_cbranch_vccnz .LBB0_6
; %bb.5:
	v_cvt_f32_u32_e32 v1, s26
	s_sub_i32 s1, 0, s26
	v_rcp_iflag_f32_e32 v1, v1
	v_mul_f32_e32 v1, 0x4f7ffffe, v1
	v_cvt_u32_f32_e32 v1, v1
	v_readfirstlane_b32 s7, v1
	s_mul_i32 s1, s1, s7
	s_mul_hi_u32 s1, s7, s1
	s_add_i32 s7, s7, s1
	s_mul_hi_u32 s1, s6, s7
	s_mul_i32 s21, s1, s26
	s_sub_i32 s21, s6, s21
	s_add_i32 s7, s1, 1
	s_sub_i32 s24, s21, s26
	s_cmp_ge_u32 s21, s26
	s_cselect_b32 s1, s7, s1
	s_cselect_b32 s21, s24, s21
	s_add_i32 s7, s1, 1
	s_cmp_ge_u32 s21, s26
	s_cselect_b32 s24, s7, s1
.LBB0_6:
	s_mul_i32 s1, s20, s19
	s_mul_hi_u32 s7, s20, s18
	s_add_i32 s7, s7, s1
	s_mul_i32 s1, s20, s18
	s_sub_u32 s1, s6, s1
	s_subb_u32 s6, 0, s7
	s_mul_i32 s6, s6, 21
	s_mul_hi_u32 s7, s1, 21
	s_load_dwordx2 s[2:3], s[2:3], 0x18
	s_add_i32 s19, s7, s6
	s_mul_i32 s18, s1, 21
	s_mul_i32 s1, s10, s19
	s_mul_hi_u32 s6, s10, s18
	s_add_i32 s1, s6, s1
	s_mul_i32 s6, s11, s18
	s_waitcnt lgkmcnt(0)
	s_mul_i32 s7, s23, s0
	s_mul_hi_u32 s20, s22, s0
	s_add_i32 s1, s1, s6
	s_mul_i32 s6, s10, s18
	s_add_i32 s20, s20, s7
	s_mul_i32 s0, s22, s0
	s_add_u32 s0, s0, s6
	s_mul_i32 s3, s3, s24
	s_mul_hi_u32 s6, s2, s24
	s_addc_u32 s1, s20, s1
	s_add_i32 s6, s6, s3
	s_mul_i32 s2, s2, s24
	s_add_u32 s2, s2, s0
	s_addc_u32 s3, s6, s1
	s_add_u32 s0, s18, 21
	v_mov_b32_e32 v1, s14
	s_addc_u32 s1, s19, 0
	v_mov_b32_e32 v2, s15
	v_cmp_le_u64_e32 vcc, s[0:1], v[1:2]
	v_mul_u32_u24_e32 v1, 0xc31, v0
	v_lshrrev_b32_e32 v62, 16, v1
	v_mul_lo_u16_e32 v1, 21, v62
	v_sub_u16_e32 v70, v0, v1
	v_mov_b32_e32 v2, s19
	v_add_co_u32_e64 v1, s[0:1], s18, v70
	v_addc_co_u32_e64 v2, s[0:1], 0, v2, s[0:1]
	v_cmp_gt_u64_e64 s[0:1], s[14:15], v[1:2]
	v_lshlrev_b32_e32 v71, 4, v62
	s_or_b64 s[6:7], vcc, s[0:1]
	v_add_u32_e32 v69, 9, v62
	v_add_u32_e32 v68, 18, v62
	;; [unrolled: 1-line block ×7, first 2 shown]
	s_and_saveexec_b64 s[0:1], s[6:7]
	s_cbranch_execz .LBB0_8
; %bb.7:
	v_mad_u64_u32 v[1:2], s[14:15], s10, v70, 0
	v_mad_u64_u32 v[3:4], s[14:15], s8, v62, 0
	;; [unrolled: 1-line block ×3, first 2 shown]
	v_mov_b32_e32 v2, v4
	v_mad_u64_u32 v[6:7], s[14:15], s9, v62, v[2:3]
	s_lshl_b64 s[14:15], s[2:3], 4
	s_add_u32 s20, s12, s14
	s_addc_u32 s14, s13, s15
	v_mov_b32_e32 v2, v5
	v_mov_b32_e32 v4, v6
	;; [unrolled: 1-line block ×3, first 2 shown]
	v_mad_u64_u32 v[5:6], s[14:15], s8, v69, 0
	v_lshlrev_b64 v[1:2], 4, v[1:2]
	v_mad_u64_u32 v[11:12], s[14:15], s8, v68, 0
	v_add_co_u32_e32 v41, vcc, s20, v1
	v_addc_co_u32_e32 v42, vcc, v7, v2, vcc
	v_lshlrev_b64 v[1:2], 4, v[3:4]
	v_mov_b32_e32 v3, v6
	v_mad_u64_u32 v[3:4], s[14:15], s9, v69, v[3:4]
	v_add_co_u32_e32 v9, vcc, v41, v1
	v_mov_b32_e32 v6, v3
	v_addc_co_u32_e32 v10, vcc, v42, v2, vcc
	v_lshlrev_b64 v[1:2], 4, v[5:6]
	v_mad_u64_u32 v[15:16], s[14:15], s8, v67, 0
	v_add_co_u32_e32 v13, vcc, v41, v1
	v_mov_b32_e32 v1, v12
	v_mad_u64_u32 v[17:18], s[14:15], s9, v68, v[1:2]
	v_mov_b32_e32 v1, v16
	v_mad_u64_u32 v[18:19], s[14:15], s9, v67, v[1:2]
	v_mad_u64_u32 v[19:20], s[14:15], s8, v66, 0
	v_mov_b32_e32 v12, v17
	v_addc_co_u32_e32 v14, vcc, v42, v2, vcc
	global_load_dwordx4 v[1:4], v[9:10], off
	global_load_dwordx4 v[5:8], v[13:14], off
	v_lshlrev_b64 v[9:10], 4, v[11:12]
	v_mad_u64_u32 v[23:24], s[14:15], s8, v65, 0
	v_add_co_u32_e32 v17, vcc, v41, v9
	v_mov_b32_e32 v9, v20
	v_mad_u64_u32 v[25:26], s[14:15], s9, v66, v[9:10]
	v_mov_b32_e32 v16, v18
	v_mov_b32_e32 v9, v24
	v_lshlrev_b64 v[11:12], 4, v[15:16]
	v_mad_u64_u32 v[26:27], s[14:15], s9, v65, v[9:10]
	v_addc_co_u32_e32 v18, vcc, v42, v10, vcc
	v_mad_u64_u32 v[27:28], s[14:15], s8, v64, 0
	v_add_co_u32_e32 v21, vcc, v41, v11
	v_mov_b32_e32 v20, v25
	v_addc_co_u32_e32 v22, vcc, v42, v12, vcc
	global_load_dwordx4 v[9:12], v[17:18], off
	global_load_dwordx4 v[13:16], v[21:22], off
	v_lshlrev_b64 v[17:18], 4, v[19:20]
	v_mov_b32_e32 v24, v26
	v_add_co_u32_e32 v25, vcc, v41, v17
	v_mov_b32_e32 v17, v28
	v_mad_u64_u32 v[31:32], s[14:15], s9, v64, v[17:18]
	v_mad_u64_u32 v[32:33], s[14:15], s8, v63, 0
	v_lshlrev_b64 v[19:20], 4, v[23:24]
	v_addc_co_u32_e32 v26, vcc, v42, v18, vcc
	v_add_co_u32_e32 v29, vcc, v41, v19
	v_mov_b32_e32 v28, v31
	v_addc_co_u32_e32 v30, vcc, v42, v20, vcc
	global_load_dwordx4 v[17:20], v[25:26], off
	global_load_dwordx4 v[21:24], v[29:30], off
	v_lshlrev_b64 v[25:26], 4, v[27:28]
	v_mov_b32_e32 v27, v33
	v_mad_u64_u32 v[27:28], s[14:15], s9, v63, v[27:28]
	v_add_u32_e32 v28, 0x48, v62
	v_mad_u64_u32 v[34:35], s[14:15], s8, v28, 0
	v_add_co_u32_e32 v36, vcc, v41, v25
	v_mov_b32_e32 v33, v27
	v_addc_co_u32_e32 v37, vcc, v42, v26, vcc
	v_lshlrev_b64 v[25:26], 4, v[32:33]
	v_mov_b32_e32 v27, v35
	v_mad_u64_u32 v[38:39], s[14:15], s9, v28, v[27:28]
	v_add_co_u32_e32 v39, vcc, v41, v25
	v_addc_co_u32_e32 v40, vcc, v42, v26, vcc
	global_load_dwordx4 v[25:28], v[36:37], off
	global_load_dwordx4 v[29:32], v[39:40], off
	v_mov_b32_e32 v35, v38
	v_lshlrev_b64 v[33:34], 4, v[34:35]
	v_mul_u32_u24_e32 v37, 0x510, v70
	v_add_co_u32_e32 v33, vcc, v41, v33
	v_addc_co_u32_e32 v34, vcc, v42, v34, vcc
	global_load_dwordx4 v[33:36], v[33:34], off
	v_add3_u32 v37, 0, v37, v71
	s_waitcnt vmcnt(8)
	ds_write_b128 v37, v[1:4]
	s_waitcnt vmcnt(7)
	ds_write_b128 v37, v[5:8] offset:144
	s_waitcnt vmcnt(6)
	ds_write_b128 v37, v[9:12] offset:288
	;; [unrolled: 2-line block ×8, first 2 shown]
.LBB0_8:
	s_or_b64 exec, exec, s[0:1]
	s_movk_i32 s0, 0x1c72
	v_mul_u32_u24_sdwa v1, v0, s0 dst_sel:DWORD dst_unused:UNUSED_PAD src0_sel:WORD_0 src1_sel:DWORD
	s_add_u32 s0, 0, 0x30c26c00
	s_addc_u32 s1, 0, 44
	v_mov_b32_e32 v4, s19
	s_add_i32 s15, s1, 0xc30c2e0
	s_mul_hi_u32 s19, s0, 0xffffffeb
	s_sub_i32 s19, s19, s0
	s_mul_i32 s20, s15, 0xffffffeb
	v_lshrrev_b32_e32 v6, 16, v1
	s_mul_i32 s14, s0, 0xffffffeb
	s_add_i32 s19, s19, s20
	v_add_co_u32_e32 v1, vcc, s18, v6
	s_mul_hi_u32 s1, s15, s14
	s_mul_i32 s18, s15, s14
	s_mul_i32 s21, s0, s19
	s_mul_hi_u32 s14, s0, s14
	s_mul_hi_u32 s20, s0, s19
	s_add_u32 s14, s14, s21
	s_addc_u32 s20, 0, s20
	s_add_u32 s14, s14, s18
	s_mul_hi_u32 s21, s15, s19
	s_addc_u32 s1, s20, s1
	s_addc_u32 s14, s21, 0
	s_mul_i32 s18, s15, s19
	s_add_u32 s1, s1, s18
	v_mov_b32_e32 v2, s1
	s_addc_u32 s14, 0, s14
	v_add_co_u32_e64 v5, s[0:1], s0, v2
	s_cmp_lg_u64 s[0:1], 0
	s_addc_u32 s14, s15, s14
	v_mad_u64_u32 v[2:3], s[0:1], v1, s14, 0
	v_mul_hi_u32 v7, v1, v5
	v_addc_co_u32_e32 v8, vcc, 0, v4, vcc
	s_waitcnt lgkmcnt(0)
	v_add_co_u32_e32 v7, vcc, v7, v2
	v_addc_co_u32_e32 v9, vcc, 0, v3, vcc
	v_mad_u64_u32 v[2:3], s[0:1], v8, v5, 0
	v_mad_u64_u32 v[4:5], s[0:1], v8, s14, 0
	v_add_co_u32_e32 v2, vcc, v7, v2
	v_addc_co_u32_e32 v2, vcc, v9, v3, vcc
	v_add_co_u32_e64 v2, s[0:1], v2, v4
	v_mad_u64_u32 v[2:3], s[14:15], v2, 21, 0
	v_addc_co_u32_e32 v4, vcc, 0, v5, vcc
	v_addc_co_u32_e64 v4, vcc, 0, v4, s[0:1]
	v_mad_u64_u32 v[3:4], s[0:1], v4, 21, v[3:4]
	v_sub_co_u32_e32 v2, vcc, v1, v2
	v_subb_co_u32_e32 v3, vcc, v8, v3, vcc
	v_subrev_co_u32_e32 v4, vcc, 21, v2
	v_subbrev_co_u32_e32 v5, vcc, 0, v3, vcc
	v_cmp_lt_u32_e32 vcc, 20, v4
	v_cndmask_b32_e64 v7, 0, -1, vcc
	v_cmp_eq_u32_e32 vcc, 0, v5
	v_cndmask_b32_e32 v5, -1, v7, vcc
	v_subrev_u32_e32 v7, 21, v4
	v_cmp_ne_u32_e32 vcc, 0, v5
	v_cndmask_b32_e32 v4, v4, v7, vcc
	v_cmp_lt_u32_e32 vcc, 20, v2
	v_cndmask_b32_e64 v5, 0, -1, vcc
	v_cmp_eq_u32_e32 vcc, 0, v3
	v_cndmask_b32_e32 v3, -1, v5, vcc
	v_cmp_ne_u32_e32 vcc, 0, v3
	v_cndmask_b32_e32 v2, v2, v4, vcc
	v_mul_u32_u24_e32 v3, 0x51, v2
	v_mul_lo_u16_e32 v2, 9, v6
	v_sub_u16_e32 v2, v0, v2
	v_lshlrev_b32_e32 v4, 4, v3
	v_lshlrev_b32_e32 v3, 4, v2
	v_add3_u32 v72, 0, v3, v4
	s_barrier
	v_add3_u32 v0, 0, v4, v3
	ds_read_b128 v[5:8], v72 offset:432
	ds_read_b128 v[9:12], v0
	ds_read_b128 v[13:16], v72 offset:144
	ds_read_b128 v[17:20], v72 offset:864
	;; [unrolled: 1-line block ×6, first 2 shown]
	s_waitcnt lgkmcnt(4)
	v_add_f64 v[43:44], v[5:6], v[17:18]
	v_add_f64 v[33:34], v[9:10], v[5:6]
	;; [unrolled: 1-line block ×3, first 2 shown]
	s_waitcnt lgkmcnt(3)
	v_add_f64 v[41:42], v[13:14], v[21:22]
	v_add_f64 v[45:46], v[15:16], v[23:24]
	v_add_f64 v[47:48], v[7:8], -v[19:20]
	v_add_f64 v[49:50], v[7:8], v[19:20]
	v_add_f64 v[51:52], v[5:6], -v[17:18]
	s_waitcnt lgkmcnt(1)
	v_add_f64 v[55:56], v[23:24], -v[31:32]
	v_add_f64 v[33:34], v[33:34], v[17:18]
	v_add_f64 v[35:36], v[35:36], v[19:20]
	ds_read_b128 v[17:20], v72 offset:1152
	v_add_f64 v[5:6], v[41:42], v[29:30]
	s_waitcnt lgkmcnt(1)
	v_add_f64 v[41:42], v[25:26], v[37:38]
	v_add_f64 v[53:54], v[27:28], v[39:40]
	;; [unrolled: 1-line block ×5, first 2 shown]
	v_add_f64 v[57:58], v[21:22], -v[29:30]
	s_mov_b32 s0, 0xe8584caa
	s_mov_b32 s1, 0x3febb67a
	s_waitcnt lgkmcnt(0)
	v_add_f64 v[21:22], v[41:42], v[17:18]
	v_add_f64 v[23:24], v[53:54], v[19:20]
	;; [unrolled: 1-line block ×3, first 2 shown]
	v_add_f64 v[53:54], v[39:40], -v[19:20]
	v_add_f64 v[39:40], v[39:40], v[19:20]
	v_add_f64 v[37:38], v[37:38], -v[17:18]
	v_fma_f64 v[17:18], v[43:44], -0.5, v[9:10]
	v_fma_f64 v[19:20], v[49:50], -0.5, v[11:12]
	;; [unrolled: 1-line block ×5, first 2 shown]
	s_mov_b32 s15, 0xbfebb67a
	v_fma_f64 v[27:28], v[39:40], -0.5, v[27:28]
	s_mov_b32 s14, s0
	v_fma_f64 v[9:10], v[47:48], s[0:1], v[17:18]
	v_fma_f64 v[11:12], v[51:52], s[14:15], v[19:20]
	;; [unrolled: 1-line block ×8, first 2 shown]
	v_lshlrev_b32_e32 v3, 5, v2
	v_add_u32_e32 v39, v72, v3
	s_barrier
	ds_write_b128 v39, v[33:36]
	v_fma_f64 v[33:34], v[53:54], s[0:1], v[25:26]
	v_fma_f64 v[35:36], v[37:38], s[14:15], v[27:28]
	;; [unrolled: 1-line block ×4, first 2 shown]
	s_movk_i32 s18, 0xab
	ds_write_b128 v39, v[9:12] offset:16
	ds_write_b128 v39, v[13:16] offset:32
	;; [unrolled: 1-line block ×6, first 2 shown]
	ds_write2_b64 v39, v[33:34], v[35:36] offset0:110 offset1:111
	ds_write2_b64 v39, v[25:26], v[27:28] offset0:112 offset1:113
	v_mul_lo_u16_sdwa v5, v2, s18 dst_sel:DWORD dst_unused:UNUSED_PAD src0_sel:BYTE_0 src1_sel:DWORD
	v_lshrrev_b16_e32 v61, 9, v5
	v_mul_lo_u16_e32 v5, 3, v61
	v_sub_u16_e32 v79, v2, v5
	v_mov_b32_e32 v5, 7
	v_lshlrev_b32_sdwa v37, v5, v79 dst_sel:DWORD dst_unused:UNUSED_PAD src0_sel:DWORD src1_sel:BYTE_0
	s_waitcnt lgkmcnt(0)
	s_barrier
	global_load_dwordx4 v[5:8], v37, s[16:17]
	global_load_dwordx4 v[9:12], v37, s[16:17] offset:16
	global_load_dwordx4 v[13:16], v37, s[16:17] offset:32
	;; [unrolled: 1-line block ×7, first 2 shown]
	ds_read_b128 v[37:40], v72 offset:144
	ds_read_b128 v[41:44], v72 offset:288
	s_movk_i32 s18, 0x1b0
	s_mov_b32 s24, 0xa2cf5039
	s_mov_b32 s21, 0x3fe491b7
	;; [unrolled: 1-line block ×14, first 2 shown]
	v_mul_lo_u32 v96, v1, v2
	s_load_dwordx2 s[4:5], s[4:5], 0x8
	s_waitcnt vmcnt(7) lgkmcnt(0)
	v_mul_f64 v[45:46], v[39:40], v[7:8]
	v_mul_f64 v[7:8], v[37:38], v[7:8]
	s_waitcnt vmcnt(6)
	v_mul_f64 v[49:50], v[43:44], v[11:12]
	v_mul_f64 v[11:12], v[41:42], v[11:12]
	v_fma_f64 v[51:52], v[37:38], v[5:6], -v[45:46]
	ds_read_b128 v[45:48], v72 offset:432
	v_fma_f64 v[53:54], v[39:40], v[5:6], v[7:8]
	ds_read_b128 v[5:8], v72 offset:1152
	ds_read_b128 v[37:40], v72 offset:1008
	v_fma_f64 v[41:42], v[41:42], v[9:10], -v[49:50]
	v_fma_f64 v[43:44], v[43:44], v[9:10], v[11:12]
	s_waitcnt vmcnt(5) lgkmcnt(2)
	v_mul_f64 v[49:50], v[47:48], v[15:16]
	s_waitcnt vmcnt(4) lgkmcnt(1)
	v_mul_f64 v[55:56], v[7:8], v[19:20]
	;; [unrolled: 2-line block ×3, first 2 shown]
	ds_read_b128 v[9:12], v72 offset:864
	v_mul_f64 v[19:20], v[5:6], v[19:20]
	v_mul_f64 v[23:24], v[37:38], v[23:24]
	;; [unrolled: 1-line block ×3, first 2 shown]
	v_fma_f64 v[45:46], v[45:46], v[13:14], -v[49:50]
	s_waitcnt vmcnt(2) lgkmcnt(0)
	v_mul_f64 v[49:50], v[11:12], v[27:28]
	v_mul_f64 v[27:28], v[9:10], v[27:28]
	v_fma_f64 v[55:56], v[5:6], v[17:18], -v[55:56]
	v_fma_f64 v[37:38], v[37:38], v[21:22], -v[57:58]
	v_fma_f64 v[17:18], v[7:8], v[17:18], v[19:20]
	v_fma_f64 v[19:20], v[39:40], v[21:22], v[23:24]
	ds_read_b128 v[5:8], v72 offset:576
	v_fma_f64 v[14:15], v[47:48], v[13:14], v[15:16]
	v_fma_f64 v[21:22], v[9:10], v[25:26], -v[49:50]
	v_fma_f64 v[23:24], v[11:12], v[25:26], v[27:28]
	ds_read_b128 v[9:12], v72 offset:720
	v_add_f64 v[25:26], v[51:52], v[55:56]
	v_add_f64 v[27:28], v[41:42], v[37:38]
	;; [unrolled: 1-line block ×4, first 2 shown]
	s_waitcnt vmcnt(1) lgkmcnt(1)
	v_mul_f64 v[49:50], v[7:8], v[31:32]
	v_mul_f64 v[31:32], v[5:6], v[31:32]
	v_add_f64 v[57:58], v[45:46], v[21:22]
	v_add_f64 v[73:74], v[14:15], v[23:24]
	v_mad_u32_u24 v16, v61, s18, 0
	v_add_f64 v[59:60], v[27:28], v[25:26]
	v_add_f64 v[14:15], v[14:15], -v[23:24]
	v_add_f64 v[75:76], v[47:48], v[39:40]
	v_fma_f64 v[49:50], v[5:6], v[29:30], -v[49:50]
	v_fma_f64 v[29:30], v[7:8], v[29:30], v[31:32]
	s_waitcnt vmcnt(0) lgkmcnt(0)
	v_mul_f64 v[5:6], v[11:12], v[35:36]
	v_mul_f64 v[7:8], v[9:10], v[35:36]
	s_mov_b32 s18, 0xe8584cab
	v_add_f64 v[31:32], v[57:58], v[59:60]
	s_mov_b32 s34, s18
	v_add_f64 v[35:36], v[73:74], v[75:76]
	v_fma_f64 v[77:78], v[9:10], v[33:34], -v[5:6]
	v_fma_f64 v[33:34], v[11:12], v[33:34], v[7:8]
	v_add_f64 v[5:6], v[49:50], v[31:32]
	v_add_f64 v[7:8], v[29:30], v[35:36]
	v_add_f64 v[35:36], v[41:42], -v[37:38]
	v_add_f64 v[37:38], v[29:30], -v[33:34]
	v_add_f64 v[29:30], v[29:30], v[33:34]
	v_add_f64 v[10:11], v[77:78], v[5:6]
	v_mov_b32_e32 v5, 4
	v_lshlrev_b32_sdwa v31, v5, v79 dst_sel:DWORD dst_unused:UNUSED_PAD src0_sel:DWORD src1_sel:BYTE_0
	v_add3_u32 v4, v16, v31, v4
	v_add_f64 v[31:32], v[51:52], -v[55:56]
	v_add_f64 v[16:17], v[53:54], -v[17:18]
	v_add_f64 v[12:13], v[33:34], v[7:8]
	ds_read_b128 v[6:9], v0
	v_add_f64 v[18:19], v[43:44], -v[19:20]
	v_add_f64 v[20:21], v[45:46], -v[21:22]
	;; [unrolled: 1-line block ×3, first 2 shown]
	v_add_f64 v[49:50], v[49:50], v[77:78]
	v_mul_f64 v[43:44], v[31:32], s[20:21]
	v_mul_f64 v[41:42], v[16:17], s[20:21]
	s_waitcnt lgkmcnt(0)
	v_fma_f64 v[45:46], v[25:26], s[24:25], v[6:7]
	v_fma_f64 v[51:52], v[39:40], s[24:25], v[8:9]
	s_mov_b32 s21, 0xbfe491b7
	v_add_f64 v[10:11], v[6:7], v[10:11]
	v_add_f64 v[12:13], v[8:9], v[12:13]
	v_mul_f64 v[53:54], v[37:38], s[20:21]
	v_fma_f64 v[43:44], v[35:36], s[28:29], v[43:44]
	v_fma_f64 v[41:42], v[18:19], s[28:29], v[41:42]
	;; [unrolled: 1-line block ×6, first 2 shown]
	s_barrier
	v_fma_f64 v[33:34], v[20:21], s[18:19], v[43:44]
	v_fma_f64 v[41:42], v[14:15], s[18:19], v[41:42]
	v_fma_f64 v[43:44], v[57:58], -0.5, v[45:46]
	v_fma_f64 v[45:46], v[73:74], -0.5, v[51:52]
	v_mul_f64 v[51:52], v[22:23], s[20:21]
	ds_write_b128 v4, v[10:13]
	v_fma_f64 v[12:13], v[16:17], s[28:29], v[53:54]
	v_fma_f64 v[79:80], v[22:23], s[22:23], v[33:34]
	v_fma_f64 v[41:42], v[37:38], s[22:23], v[41:42]
	v_fma_f64 v[43:44], v[49:50], s[30:31], v[43:44]
	v_fma_f64 v[33:34], v[25:26], s[26:27], v[55:56]
	v_fma_f64 v[51:52], v[31:32], s[28:29], v[51:52]
	v_fma_f64 v[53:54], v[39:40], s[26:27], v[77:78]
	v_mul_f64 v[55:56], v[37:38], s[28:29]
	v_fma_f64 v[12:13], v[14:15], s[34:35], v[12:13]
	v_fma_f64 v[77:78], v[27:28], s[24:25], v[6:7]
	;; [unrolled: 1-line block ×3, first 2 shown]
	v_add_f64 v[10:11], v[41:42], v[43:44]
	v_fma_f64 v[33:34], v[57:58], -0.5, v[33:34]
	v_fma_f64 v[43:44], v[20:21], s[34:35], v[51:52]
	v_fma_f64 v[51:52], v[73:74], -0.5, v[53:54]
	v_mul_f64 v[53:54], v[22:23], s[28:29]
	v_fma_f64 v[83:84], v[18:19], s[22:23], v[12:13]
	v_add_f64 v[6:7], v[6:7], v[57:58]
	v_add_f64 v[37:38], v[37:38], v[16:17]
	v_fma_f64 v[45:46], v[29:30], s[30:31], v[45:46]
	v_fma_f64 v[12:13], v[27:28], s[30:31], v[33:34]
	v_fma_f64 v[33:34], v[18:19], s[20:21], -v[55:56]
	v_fma_f64 v[55:56], v[29:30], s[26:27], v[81:82]
	v_fma_f64 v[27:28], v[35:36], s[20:21], -v[53:54]
	v_fma_f64 v[53:54], v[49:50], s[26:27], v[77:78]
	v_add_f64 v[49:50], v[49:50], v[59:60]
	v_add_f64 v[8:9], v[8:9], v[73:74]
	;; [unrolled: 1-line block ×4, first 2 shown]
	v_fma_f64 v[14:15], v[14:15], s[18:19], v[33:34]
	v_fma_f64 v[33:34], v[73:74], -0.5, v[55:56]
	v_fma_f64 v[20:21], v[20:21], s[18:19], v[27:28]
	v_fma_f64 v[27:28], v[57:58], -0.5, v[53:54]
	v_fma_f64 v[49:50], v[49:50], -0.5, v[6:7]
	v_add_f64 v[18:19], v[37:38], -v[18:19]
	v_fma_f64 v[8:9], v[29:30], -0.5, v[8:9]
	v_add_f64 v[22:23], v[22:23], -v[35:36]
	v_fma_f64 v[53:54], v[16:17], s[22:23], v[14:15]
	v_add_f64 v[6:7], v[83:84], v[12:13]
	v_fma_f64 v[37:38], v[31:32], s[22:23], v[20:21]
	v_fma_f64 v[20:21], v[25:26], s[30:31], v[27:28]
	;; [unrolled: 1-line block ×6, first 2 shown]
	v_mul_f64 v[30:31], v[18:19], s[18:19]
	v_fma_f64 v[16:17], v[22:23], s[34:35], v[8:9]
	v_add_f64 v[12:13], v[45:46], -v[79:80]
	v_add_f64 v[18:19], v[53:54], v[20:21]
	v_add_f64 v[20:21], v[24:25], -v[37:38]
	v_mul_f64 v[24:25], v[22:23], s[18:19]
	v_add_f64 v[8:9], v[26:27], -v[28:29]
	v_fma_f64 v[26:27], v[83:84], -2.0, v[6:7]
	v_fma_f64 v[30:31], v[30:31], -2.0, v[14:15]
	;; [unrolled: 1-line block ×3, first 2 shown]
	v_add_u32_e32 v52, 9, v2
	v_fma_f64 v[34:35], v[53:54], -2.0, v[18:19]
	v_fma_f64 v[36:37], v[37:38], 2.0, v[20:21]
	v_fma_f64 v[32:33], v[24:25], 2.0, v[16:17]
	v_fma_f64 v[28:29], v[28:29], 2.0, v[8:9]
	v_fma_f64 v[24:25], v[79:80], 2.0, v[12:13]
	ds_write_b128 v4, v[10:13] offset:48
	ds_write_b128 v4, v[6:9] offset:96
	;; [unrolled: 1-line block ×8, first 2 shown]
	s_waitcnt lgkmcnt(0)
	s_barrier
	global_load_dwordx4 v[6:9], v3, s[16:17] offset:384
	global_load_dwordx4 v[10:13], v3, s[16:17] offset:400
	v_lshlrev_b32_e32 v3, 5, v52
	global_load_dwordx4 v[14:17], v3, s[16:17] offset:384
	global_load_dwordx4 v[18:21], v3, s[16:17] offset:400
	v_add_u32_e32 v56, 18, v2
	v_lshlrev_b32_e32 v3, 5, v56
	global_load_dwordx4 v[22:25], v3, s[16:17] offset:384
	global_load_dwordx4 v[38:41], v3, s[16:17] offset:400
	ds_read_b128 v[26:29], v72 offset:432
	ds_read_b128 v[34:37], v72 offset:576
	;; [unrolled: 1-line block ×4, first 2 shown]
	v_mov_b32_e32 v74, 0x1000
	v_mul_lo_u32 v99, v1, v52
	v_mul_lo_u32 v102, v1, v56
	s_waitcnt vmcnt(5) lgkmcnt(3)
	v_mul_f64 v[3:4], v[28:29], v[8:9]
	v_mul_f64 v[8:9], v[26:27], v[8:9]
	s_waitcnt vmcnt(1) lgkmcnt(0)
	v_mul_f64 v[48:49], v[42:43], v[24:25]
	v_fma_f64 v[60:61], v[26:27], v[6:7], -v[3:4]
	v_mul_f64 v[3:4], v[32:33], v[12:13]
	v_mul_f64 v[12:13], v[30:31], v[12:13]
	v_fma_f64 v[76:77], v[28:29], v[6:7], v[8:9]
	ds_read_b128 v[6:9], v72 offset:1008
	v_mul_f64 v[26:27], v[36:37], v[16:17]
	v_mul_f64 v[16:17], v[34:35], v[16:17]
	v_fma_f64 v[78:79], v[30:31], v[10:11], -v[3:4]
	v_fma_f64 v[80:81], v[32:33], v[10:11], v[12:13]
	ds_read_b128 v[10:13], v72 offset:1152
	s_waitcnt lgkmcnt(1)
	v_mul_f64 v[46:47], v[8:9], v[20:21]
	v_mul_f64 v[3:4], v[6:7], v[20:21]
	v_fma_f64 v[28:29], v[34:35], v[14:15], -v[26:27]
	v_mul_f64 v[20:21], v[44:45], v[24:25]
	v_fma_f64 v[30:31], v[36:37], v[14:15], v[16:17]
	v_fma_f64 v[26:27], v[44:45], v[22:23], v[48:49]
	v_fma_f64 v[32:33], v[6:7], v[18:19], -v[46:47]
	v_bfe_u32 v6, v96, 8, 8
	v_fma_f64 v[34:35], v[8:9], v[18:19], v[3:4]
	v_lshl_or_b32 v18, v6, 4, v74
	v_add_u32_e32 v6, 27, v2
	v_lshlrev_b32_sdwa v19, v5, v96 dst_sel:DWORD dst_unused:UNUSED_PAD src0_sel:DWORD src1_sel:BYTE_0
	v_mul_lo_u32 v97, v1, v6
	global_load_dwordx4 v[6:9], v19, s[4:5]
	global_load_dwordx4 v[14:17], v18, s[4:5]
	v_fma_f64 v[24:25], v[42:43], v[22:23], -v[20:21]
	s_waitcnt vmcnt(2) lgkmcnt(0)
	v_mul_f64 v[3:4], v[12:13], v[40:41]
	v_bfe_u32 v18, v97, 8, 8
	v_lshl_or_b32 v36, v18, 4, v74
	v_add_u32_e32 v18, 54, v2
	v_lshlrev_b32_sdwa v37, v5, v97 dst_sel:DWORD dst_unused:UNUSED_PAD src0_sel:DWORD src1_sel:BYTE_0
	v_mul_f64 v[22:23], v[10:11], v[40:41]
	v_mul_lo_u32 v98, v1, v18
	global_load_dwordx4 v[18:21], v37, s[4:5]
	global_load_dwordx4 v[40:43], v36, s[4:5]
	v_bfe_u32 v36, v98, 8, 8
	v_lshlrev_b32_sdwa v37, v5, v98 dst_sel:DWORD dst_unused:UNUSED_PAD src0_sel:DWORD src1_sel:BYTE_0
	v_lshl_or_b32 v36, v36, 4, v74
	global_load_dwordx4 v[44:47], v37, s[4:5]
	global_load_dwordx4 v[48:51], v36, s[4:5]
	v_fma_f64 v[36:37], v[10:11], v[38:39], -v[3:4]
	v_bfe_u32 v3, v99, 8, 8
	v_lshlrev_b32_sdwa v4, v5, v99 dst_sel:DWORD dst_unused:UNUSED_PAD src0_sel:DWORD src1_sel:BYTE_0
	v_fma_f64 v[38:39], v[12:13], v[38:39], v[22:23]
	v_lshl_or_b32 v3, v3, 4, v74
	global_load_dwordx4 v[10:13], v4, s[4:5]
	global_load_dwordx4 v[52:55], v3, s[4:5]
	s_waitcnt vmcnt(6)
	v_mul_f64 v[3:4], v[8:9], v[16:17]
	v_mul_f64 v[16:17], v[6:7], v[16:17]
	v_fma_f64 v[22:23], v[6:7], v[14:15], -v[3:4]
	s_waitcnt vmcnt(4)
	v_mul_f64 v[3:4], v[20:21], v[42:43]
	v_mul_f64 v[6:7], v[18:19], v[42:43]
	v_fma_f64 v[82:83], v[8:9], v[14:15], v[16:17]
	s_waitcnt vmcnt(2)
	v_mul_f64 v[8:9], v[46:47], v[50:51]
	v_mul_f64 v[14:15], v[44:45], v[50:51]
	v_fma_f64 v[50:51], v[18:19], v[40:41], -v[3:4]
	v_add_u32_e32 v3, 36, v2
	v_mul_lo_u32 v100, v1, v3
	v_fma_f64 v[84:85], v[20:21], v[40:41], v[6:7]
	s_waitcnt vmcnt(0)
	v_mul_f64 v[3:4], v[12:13], v[54:55]
	v_mul_f64 v[18:19], v[10:11], v[54:55]
	v_bfe_u32 v6, v100, 8, 8
	v_lshlrev_b32_sdwa v21, v5, v100 dst_sel:DWORD dst_unused:UNUSED_PAD src0_sel:DWORD src1_sel:BYTE_0
	v_fma_f64 v[86:87], v[44:45], v[48:49], -v[8:9]
	v_fma_f64 v[48:49], v[46:47], v[48:49], v[14:15]
	v_lshl_or_b32 v20, v6, 4, v74
	global_load_dwordx4 v[6:9], v21, s[4:5]
	global_load_dwordx4 v[14:17], v20, s[4:5]
	v_add_u32_e32 v20, 63, v2
	v_mul_lo_u32 v101, v1, v20
	v_fma_f64 v[54:55], v[10:11], v[52:53], -v[3:4]
	v_fma_f64 v[52:53], v[12:13], v[52:53], v[18:19]
	v_bfe_u32 v3, v101, 8, 8
	v_lshlrev_b32_sdwa v4, v5, v101 dst_sel:DWORD dst_unused:UNUSED_PAD src0_sel:DWORD src1_sel:BYTE_0
	v_lshl_or_b32 v3, v3, 4, v74
	global_load_dwordx4 v[10:13], v4, s[4:5]
	global_load_dwordx4 v[18:21], v3, s[4:5]
	s_waitcnt vmcnt(2)
	v_mul_f64 v[3:4], v[8:9], v[16:17]
	v_mul_f64 v[16:17], v[6:7], v[16:17]
	v_fma_f64 v[88:89], v[6:7], v[14:15], -v[3:4]
	s_waitcnt vmcnt(0)
	v_mul_f64 v[3:4], v[12:13], v[20:21]
	v_mul_f64 v[6:7], v[10:11], v[20:21]
	v_fma_f64 v[90:91], v[8:9], v[14:15], v[16:17]
	v_add_f64 v[20:21], v[60:61], -v[78:79]
	v_fma_f64 v[92:93], v[10:11], v[18:19], -v[3:4]
	v_bfe_u32 v3, v102, 8, 8
	v_lshlrev_b32_sdwa v4, v5, v102 dst_sel:DWORD dst_unused:UNUSED_PAD src0_sel:DWORD src1_sel:BYTE_0
	v_fma_f64 v[94:95], v[12:13], v[18:19], v[6:7]
	v_lshl_or_b32 v3, v3, 4, v74
	global_load_dwordx4 v[6:9], v4, s[4:5]
	global_load_dwordx4 v[10:13], v3, s[4:5]
	s_waitcnt vmcnt(0)
	v_mul_f64 v[3:4], v[8:9], v[12:13]
	v_mul_f64 v[12:13], v[6:7], v[12:13]
	v_fma_f64 v[56:57], v[6:7], v[10:11], -v[3:4]
	v_add_u32_e32 v3, 45, v2
	v_mul_lo_u32 v75, v1, v3
	v_fma_f64 v[58:59], v[8:9], v[10:11], v[12:13]
	v_add_u32_e32 v2, 0x48, v2
	v_mul_lo_u32 v73, v1, v2
	v_bfe_u32 v3, v75, 8, 8
	v_lshlrev_b32_sdwa v4, v5, v75 dst_sel:DWORD dst_unused:UNUSED_PAD src0_sel:DWORD src1_sel:BYTE_0
	v_lshl_or_b32 v3, v3, 4, v74
	global_load_dwordx4 v[6:9], v4, s[4:5]
	global_load_dwordx4 v[10:13], v3, s[4:5]
	v_bfe_u32 v1, v73, 8, 8
	s_waitcnt vmcnt(0)
	v_mul_f64 v[3:4], v[8:9], v[12:13]
	v_fma_f64 v[44:45], v[6:7], v[10:11], -v[3:4]
	v_mul_f64 v[3:4], v[6:7], v[12:13]
	v_fma_f64 v[46:47], v[8:9], v[10:11], v[3:4]
	v_lshlrev_b32_sdwa v10, v5, v73 dst_sel:DWORD dst_unused:UNUSED_PAD src0_sel:DWORD src1_sel:BYTE_0
	v_lshl_or_b32 v9, v1, 4, v74
	global_load_dwordx4 v[1:4], v10, s[4:5]
	global_load_dwordx4 v[5:8], v9, s[4:5]
	v_mov_b32_e32 v74, 0x2000
	s_waitcnt vmcnt(0)
	v_mul_f64 v[9:10], v[3:4], v[7:8]
	v_fma_f64 v[40:41], v[1:2], v[5:6], -v[9:10]
	v_mul_f64 v[1:2], v[1:2], v[7:8]
	v_fma_f64 v[42:43], v[3:4], v[5:6], v[1:2]
	v_bfe_u32 v1, v96, 16, 8
	v_lshl_or_b32 v1, v1, 4, v74
	global_load_dwordx4 v[1:4], v1, s[4:5]
	s_waitcnt vmcnt(0)
	v_mul_f64 v[5:6], v[82:83], v[3:4]
	v_mul_f64 v[3:4], v[22:23], v[3:4]
	v_fma_f64 v[8:9], v[1:2], v[22:23], -v[5:6]
	v_fma_f64 v[1:2], v[1:2], v[82:83], v[3:4]
	ds_read_b128 v[4:7], v0
	s_waitcnt lgkmcnt(0)
	v_add_f64 v[10:11], v[6:7], v[76:77]
	v_add_f64 v[12:13], v[4:5], v[60:61]
	;; [unrolled: 1-line block ×4, first 2 shown]
	v_mul_f64 v[14:15], v[10:11], v[1:2]
	v_mul_f64 v[2:3], v[12:13], v[1:2]
	v_fma_f64 v[0:1], v[12:13], v[8:9], -v[14:15]
	v_fma_f64 v[2:3], v[10:11], v[8:9], v[2:3]
	v_bfe_u32 v8, v97, 16, 8
	v_lshl_or_b32 v8, v8, 4, v74
	global_load_dwordx4 v[8:11], v8, s[4:5]
	s_waitcnt vmcnt(0)
	v_mul_f64 v[12:13], v[84:85], v[10:11]
	v_mul_f64 v[10:11], v[50:51], v[10:11]
	v_fma_f64 v[12:13], v[8:9], v[50:51], -v[12:13]
	v_fma_f64 v[8:9], v[8:9], v[84:85], v[10:11]
	v_add_f64 v[10:11], v[60:61], v[78:79]
	v_add_f64 v[50:51], v[76:77], -v[80:81]
	v_fma_f64 v[16:17], v[10:11], -0.5, v[4:5]
	v_add_f64 v[4:5], v[76:77], v[80:81]
	v_fma_f64 v[18:19], v[4:5], -0.5, v[6:7]
	v_fma_f64 v[4:5], v[50:51], s[0:1], v[16:17]
	v_fma_f64 v[16:17], v[50:51], s[14:15], v[16:17]
	;; [unrolled: 1-line block ×3, first 2 shown]
	v_mul_f64 v[10:11], v[6:7], v[8:9]
	v_mul_f64 v[8:9], v[4:5], v[8:9]
	v_fma_f64 v[4:5], v[4:5], v[12:13], -v[10:11]
	v_fma_f64 v[6:7], v[6:7], v[12:13], v[8:9]
	v_bfe_u32 v8, v98, 16, 8
	v_lshl_or_b32 v8, v8, 4, v74
	global_load_dwordx4 v[8:11], v8, s[4:5]
	s_waitcnt vmcnt(0)
	v_mul_f64 v[12:13], v[48:49], v[10:11]
	v_mul_f64 v[10:11], v[86:87], v[10:11]
	v_fma_f64 v[60:61], v[8:9], v[86:87], -v[12:13]
	v_fma_f64 v[8:9], v[8:9], v[48:49], v[10:11]
	v_bfe_u32 v10, v99, 16, 8
	v_lshl_or_b32 v10, v10, 4, v74
	global_load_dwordx4 v[12:15], v10, s[4:5]
	v_fma_f64 v[10:11], v[20:21], s[0:1], v[18:19]
	v_bfe_u32 v18, v100, 16, 8
	v_lshl_or_b32 v18, v18, 4, v74
	global_load_dwordx4 v[20:23], v18, s[4:5]
	v_mul_f64 v[48:49], v[16:17], v[8:9]
	v_mul_f64 v[18:19], v[10:11], v[8:9]
	v_fma_f64 v[10:11], v[10:11], v[60:61], v[48:49]
	v_fma_f64 v[8:9], v[16:17], v[60:61], -v[18:19]
	s_waitcnt vmcnt(1)
	v_mul_f64 v[16:17], v[52:53], v[14:15]
	v_mul_f64 v[14:15], v[54:55], v[14:15]
	v_fma_f64 v[48:49], v[12:13], v[54:55], -v[16:17]
	ds_read_b128 v[16:19], v72 offset:144
	v_fma_f64 v[12:13], v[12:13], v[52:53], v[14:15]
	s_waitcnt lgkmcnt(0)
	v_add_f64 v[14:15], v[18:19], v[30:31]
	v_add_f64 v[50:51], v[16:17], v[28:29]
	;; [unrolled: 1-line block ×4, first 2 shown]
	v_mul_f64 v[52:53], v[14:15], v[12:13]
	v_mul_f64 v[54:55], v[50:51], v[12:13]
	v_bfe_u32 v12, v101, 16, 8
	v_lshl_or_b32 v60, v12, 4, v74
	global_load_dwordx4 v[76:79], v60, s[4:5]
	v_fma_f64 v[12:13], v[50:51], v[48:49], -v[52:53]
	v_fma_f64 v[14:15], v[14:15], v[48:49], v[54:55]
	s_waitcnt vmcnt(1)
	v_mul_f64 v[48:49], v[90:91], v[22:23]
	v_mul_f64 v[22:23], v[88:89], v[22:23]
	v_fma_f64 v[48:49], v[20:21], v[88:89], -v[48:49]
	v_fma_f64 v[52:53], v[20:21], v[90:91], v[22:23]
	v_bfe_u32 v20, v102, 16, 8
	v_lshl_or_b32 v20, v20, 4, v74
	global_load_dwordx4 v[20:23], v20, s[4:5]
	s_waitcnt vmcnt(1)
	v_mul_f64 v[50:51], v[94:95], v[78:79]
	v_mul_f64 v[54:55], v[92:93], v[78:79]
	v_fma_f64 v[50:51], v[76:77], v[92:93], -v[50:51]
	v_fma_f64 v[54:55], v[76:77], v[94:95], v[54:55]
	ds_read_b128 v[76:79], v72 offset:288
	s_waitcnt lgkmcnt(0)
	v_add_f64 v[80:81], v[76:77], v[24:25]
	s_waitcnt vmcnt(0)
	v_mul_f64 v[60:61], v[58:59], v[22:23]
	v_mul_f64 v[22:23], v[56:57], v[22:23]
	v_add_f64 v[80:81], v[80:81], v[36:37]
	v_fma_f64 v[60:61], v[20:21], v[56:57], -v[60:61]
	v_fma_f64 v[56:57], v[20:21], v[58:59], v[22:23]
	v_add_f64 v[58:59], v[78:79], v[26:27]
	v_bfe_u32 v20, v75, 16, 8
	v_lshl_or_b32 v20, v20, 4, v74
	global_load_dwordx4 v[20:23], v20, s[4:5]
	v_mul_f64 v[84:85], v[80:81], v[56:57]
	v_add_f64 v[58:59], v[58:59], v[38:39]
	v_mul_f64 v[82:83], v[58:59], v[56:57]
	v_fma_f64 v[58:59], v[58:59], v[60:61], v[84:85]
	v_fma_f64 v[56:57], v[80:81], v[60:61], -v[82:83]
	v_bfe_u32 v60, v73, 16, 8
	v_lshl_or_b32 v60, v60, 4, v74
	global_load_dwordx4 v[80:83], v60, s[4:5]
	v_add_f64 v[73:74], v[26:27], v[38:39]
	v_add_f64 v[26:27], v[26:27], -v[38:39]
	s_waitcnt vmcnt(0)
	s_barrier
	v_mul_f64 v[60:61], v[46:47], v[22:23]
	v_mul_f64 v[22:23], v[44:45], v[22:23]
	v_fma_f64 v[44:45], v[20:21], v[44:45], -v[60:61]
	v_fma_f64 v[20:21], v[20:21], v[46:47], v[22:23]
	v_add_f64 v[22:23], v[28:29], v[32:33]
	v_add_f64 v[46:47], v[30:31], v[34:35]
	;; [unrolled: 1-line block ×3, first 2 shown]
	v_add_f64 v[28:29], v[28:29], -v[32:33]
	v_add_f64 v[30:31], v[30:31], -v[34:35]
	v_fma_f64 v[34:35], v[73:74], -0.5, v[78:79]
	v_add_f64 v[24:25], v[24:25], -v[36:37]
	v_fma_f64 v[16:17], v[22:23], -0.5, v[16:17]
	v_fma_f64 v[18:19], v[46:47], -0.5, v[18:19]
	;; [unrolled: 1-line block ×3, first 2 shown]
	v_mul_f64 v[22:23], v[42:43], v[82:83]
	v_mul_f64 v[46:47], v[40:41], v[82:83]
	v_fma_f64 v[38:39], v[28:29], s[14:15], v[18:19]
	v_fma_f64 v[18:19], v[28:29], s[0:1], v[18:19]
	;; [unrolled: 1-line block ×4, first 2 shown]
	v_fma_f64 v[22:23], v[80:81], v[40:41], -v[22:23]
	v_fma_f64 v[40:41], v[30:31], s[0:1], v[16:17]
	v_fma_f64 v[16:17], v[30:31], s[14:15], v[16:17]
	;; [unrolled: 1-line block ×5, first 2 shown]
	v_mul_f64 v[32:33], v[38:39], v[52:53]
	v_mul_f64 v[42:43], v[18:19], v[54:55]
	;; [unrolled: 1-line block ×8, first 2 shown]
	v_fma_f64 v[32:33], v[40:41], v[48:49], -v[32:33]
	v_fma_f64 v[16:17], v[16:17], v[50:51], -v[42:43]
	v_fma_f64 v[34:35], v[38:39], v[48:49], v[34:35]
	v_fma_f64 v[18:19], v[18:19], v[50:51], v[46:47]
	v_fma_f64 v[30:31], v[30:31], v[44:45], -v[52:53]
	v_fma_f64 v[20:21], v[28:29], v[44:45], v[20:21]
	v_fma_f64 v[26:27], v[26:27], v[22:23], -v[54:55]
	v_fma_f64 v[22:23], v[24:25], v[22:23], v[36:37]
	ds_write_b128 v72, v[0:3]
	ds_write_b128 v72, v[4:7] offset:432
	ds_write_b128 v72, v[8:11] offset:864
	ds_write_b128 v72, v[12:15] offset:144
	ds_write2_b64 v72, v[32:33], v[34:35] offset0:72 offset1:73
	ds_write2_b64 v72, v[16:17], v[18:19] offset0:126 offset1:127
	ds_write_b128 v72, v[56:59] offset:288
	ds_write2_b64 v72, v[30:31], v[20:21] offset0:90 offset1:91
	ds_write2_b64 v72, v[26:27], v[22:23] offset0:144 offset1:145
	s_waitcnt lgkmcnt(0)
	s_barrier
	s_and_saveexec_b64 s[0:1], s[6:7]
	s_cbranch_execz .LBB0_10
; %bb.9:
	v_mad_u64_u32 v[0:1], s[0:1], s10, v70, 0
	v_mad_u64_u32 v[2:3], s[0:1], s8, v62, 0
	v_add_u32_e32 v18, 0x48, v62
	v_mad_u64_u32 v[4:5], s[0:1], s11, v70, v[1:2]
	v_mov_b32_e32 v1, v3
	v_mad_u64_u32 v[5:6], s[0:1], s9, v62, v[1:2]
	v_mov_b32_e32 v1, v4
	s_lshl_b64 s[0:1], s[2:3], 4
	s_add_u32 s0, s12, s0
	v_lshlrev_b64 v[0:1], 4, v[0:1]
	v_mul_u32_u24_e32 v4, 0x510, v70
	s_addc_u32 s1, s13, s1
	v_add3_u32 v15, 0, v4, v71
	v_mov_b32_e32 v4, s1
	v_add_co_u32_e32 v16, vcc, s0, v0
	v_mad_u64_u32 v[8:9], s[0:1], s8, v69, 0
	v_mov_b32_e32 v3, v5
	v_addc_co_u32_e32 v17, vcc, v4, v1, vcc
	v_lshlrev_b64 v[0:1], 4, v[2:3]
	v_mov_b32_e32 v4, v9
	v_add_co_u32_e32 v10, vcc, v16, v0
	v_addc_co_u32_e32 v11, vcc, v17, v1, vcc
	ds_read_b128 v[0:3], v15
	v_mad_u64_u32 v[12:13], s[0:1], s9, v69, v[4:5]
	ds_read_b128 v[4:7], v15 offset:144
	v_mad_u64_u32 v[13:14], s[0:1], s8, v68, 0
	s_waitcnt lgkmcnt(1)
	global_store_dwordx4 v[10:11], v[0:3], off
	v_mov_b32_e32 v9, v12
	v_mov_b32_e32 v2, v14
	v_mad_u64_u32 v[2:3], s[0:1], s9, v68, v[2:3]
	v_lshlrev_b64 v[0:1], 4, v[8:9]
	v_mad_u64_u32 v[8:9], s[0:1], s8, v67, 0
	v_add_co_u32_e32 v0, vcc, v16, v0
	v_addc_co_u32_e32 v1, vcc, v17, v1, vcc
	v_mov_b32_e32 v14, v2
	s_waitcnt lgkmcnt(0)
	global_store_dwordx4 v[0:1], v[4:7], off
	v_lshlrev_b64 v[0:1], 4, v[13:14]
	v_mov_b32_e32 v4, v9
	v_add_co_u32_e32 v10, vcc, v16, v0
	v_addc_co_u32_e32 v11, vcc, v17, v1, vcc
	ds_read_b128 v[0:3], v15 offset:288
	v_mad_u64_u32 v[12:13], s[0:1], s9, v67, v[4:5]
	ds_read_b128 v[4:7], v15 offset:432
	v_mad_u64_u32 v[13:14], s[0:1], s8, v66, 0
	s_waitcnt lgkmcnt(1)
	global_store_dwordx4 v[10:11], v[0:3], off
	v_mov_b32_e32 v9, v12
	v_mov_b32_e32 v2, v14
	v_mad_u64_u32 v[2:3], s[0:1], s9, v66, v[2:3]
	v_lshlrev_b64 v[0:1], 4, v[8:9]
	v_mad_u64_u32 v[8:9], s[0:1], s8, v65, 0
	v_add_co_u32_e32 v0, vcc, v16, v0
	v_addc_co_u32_e32 v1, vcc, v17, v1, vcc
	v_mov_b32_e32 v14, v2
	s_waitcnt lgkmcnt(0)
	global_store_dwordx4 v[0:1], v[4:7], off
	v_lshlrev_b64 v[0:1], 4, v[13:14]
	v_mov_b32_e32 v4, v9
	v_add_co_u32_e32 v10, vcc, v16, v0
	v_addc_co_u32_e32 v11, vcc, v17, v1, vcc
	ds_read_b128 v[0:3], v15 offset:576
	v_mad_u64_u32 v[12:13], s[0:1], s9, v65, v[4:5]
	ds_read_b128 v[4:7], v15 offset:720
	v_mad_u64_u32 v[13:14], s[0:1], s8, v64, 0
	s_waitcnt lgkmcnt(1)
	global_store_dwordx4 v[10:11], v[0:3], off
	v_mov_b32_e32 v9, v12
	v_mov_b32_e32 v2, v14
	v_mad_u64_u32 v[2:3], s[0:1], s9, v64, v[2:3]
	v_lshlrev_b64 v[0:1], 4, v[8:9]
	v_mad_u64_u32 v[8:9], s[0:1], s8, v63, 0
	v_add_co_u32_e32 v0, vcc, v16, v0
	v_addc_co_u32_e32 v1, vcc, v17, v1, vcc
	v_mov_b32_e32 v14, v2
	s_waitcnt lgkmcnt(0)
	global_store_dwordx4 v[0:1], v[4:7], off
	v_lshlrev_b64 v[0:1], 4, v[13:14]
	v_add_co_u32_e32 v10, vcc, v16, v0
	v_mov_b32_e32 v0, v9
	v_mad_u64_u32 v[12:13], s[0:1], s9, v63, v[0:1]
	v_addc_co_u32_e32 v11, vcc, v17, v1, vcc
	ds_read_b128 v[0:3], v15 offset:864
	ds_read_b128 v[4:7], v15 offset:1008
	v_mad_u64_u32 v[13:14], s[0:1], s8, v18, 0
	v_mov_b32_e32 v9, v12
	s_waitcnt lgkmcnt(1)
	global_store_dwordx4 v[10:11], v[0:3], off
	s_nop 0
	v_mov_b32_e32 v2, v14
	v_lshlrev_b64 v[0:1], 4, v[8:9]
	v_mad_u64_u32 v[2:3], s[0:1], s9, v18, v[2:3]
	v_add_co_u32_e32 v0, vcc, v16, v0
	v_addc_co_u32_e32 v1, vcc, v17, v1, vcc
	s_waitcnt lgkmcnt(0)
	global_store_dwordx4 v[0:1], v[4:7], off
	v_mov_b32_e32 v14, v2
	ds_read_b128 v[0:3], v15 offset:1152
	v_lshlrev_b64 v[4:5], 4, v[13:14]
	v_add_co_u32_e32 v4, vcc, v16, v4
	v_addc_co_u32_e32 v5, vcc, v17, v5, vcc
	s_waitcnt lgkmcnt(0)
	global_store_dwordx4 v[4:5], v[0:3], off
.LBB0_10:
	s_endpgm
	.section	.rodata,"a",@progbits
	.p2align	6, 0x0
	.amdhsa_kernel fft_rtc_fwd_len81_factors_3_9_3_wgs_189_tpt_9_dim3_dp_ip_CI_sbcc_twdbase8_3step
		.amdhsa_group_segment_fixed_size 0
		.amdhsa_private_segment_fixed_size 0
		.amdhsa_kernarg_size 88
		.amdhsa_user_sgpr_count 6
		.amdhsa_user_sgpr_private_segment_buffer 1
		.amdhsa_user_sgpr_dispatch_ptr 0
		.amdhsa_user_sgpr_queue_ptr 0
		.amdhsa_user_sgpr_kernarg_segment_ptr 1
		.amdhsa_user_sgpr_dispatch_id 0
		.amdhsa_user_sgpr_flat_scratch_init 0
		.amdhsa_user_sgpr_private_segment_size 0
		.amdhsa_uses_dynamic_stack 0
		.amdhsa_system_sgpr_private_segment_wavefront_offset 0
		.amdhsa_system_sgpr_workgroup_id_x 1
		.amdhsa_system_sgpr_workgroup_id_y 0
		.amdhsa_system_sgpr_workgroup_id_z 0
		.amdhsa_system_sgpr_workgroup_info 0
		.amdhsa_system_vgpr_workitem_id 0
		.amdhsa_next_free_vgpr 103
		.amdhsa_next_free_sgpr 36
		.amdhsa_reserve_vcc 1
		.amdhsa_reserve_flat_scratch 0
		.amdhsa_float_round_mode_32 0
		.amdhsa_float_round_mode_16_64 0
		.amdhsa_float_denorm_mode_32 3
		.amdhsa_float_denorm_mode_16_64 3
		.amdhsa_dx10_clamp 1
		.amdhsa_ieee_mode 1
		.amdhsa_fp16_overflow 0
		.amdhsa_exception_fp_ieee_invalid_op 0
		.amdhsa_exception_fp_denorm_src 0
		.amdhsa_exception_fp_ieee_div_zero 0
		.amdhsa_exception_fp_ieee_overflow 0
		.amdhsa_exception_fp_ieee_underflow 0
		.amdhsa_exception_fp_ieee_inexact 0
		.amdhsa_exception_int_div_zero 0
	.end_amdhsa_kernel
	.text
.Lfunc_end0:
	.size	fft_rtc_fwd_len81_factors_3_9_3_wgs_189_tpt_9_dim3_dp_ip_CI_sbcc_twdbase8_3step, .Lfunc_end0-fft_rtc_fwd_len81_factors_3_9_3_wgs_189_tpt_9_dim3_dp_ip_CI_sbcc_twdbase8_3step
                                        ; -- End function
	.section	.AMDGPU.csdata,"",@progbits
; Kernel info:
; codeLenInByte = 7064
; NumSgprs: 40
; NumVgprs: 103
; ScratchSize: 0
; MemoryBound: 0
; FloatMode: 240
; IeeeMode: 1
; LDSByteSize: 0 bytes/workgroup (compile time only)
; SGPRBlocks: 4
; VGPRBlocks: 25
; NumSGPRsForWavesPerEU: 40
; NumVGPRsForWavesPerEU: 103
; Occupancy: 2
; WaveLimiterHint : 1
; COMPUTE_PGM_RSRC2:SCRATCH_EN: 0
; COMPUTE_PGM_RSRC2:USER_SGPR: 6
; COMPUTE_PGM_RSRC2:TRAP_HANDLER: 0
; COMPUTE_PGM_RSRC2:TGID_X_EN: 1
; COMPUTE_PGM_RSRC2:TGID_Y_EN: 0
; COMPUTE_PGM_RSRC2:TGID_Z_EN: 0
; COMPUTE_PGM_RSRC2:TIDIG_COMP_CNT: 0
	.type	__hip_cuid_3369b9411189906f,@object ; @__hip_cuid_3369b9411189906f
	.section	.bss,"aw",@nobits
	.globl	__hip_cuid_3369b9411189906f
__hip_cuid_3369b9411189906f:
	.byte	0                               ; 0x0
	.size	__hip_cuid_3369b9411189906f, 1

	.ident	"AMD clang version 19.0.0git (https://github.com/RadeonOpenCompute/llvm-project roc-6.4.0 25133 c7fe45cf4b819c5991fe208aaa96edf142730f1d)"
	.section	".note.GNU-stack","",@progbits
	.addrsig
	.addrsig_sym __hip_cuid_3369b9411189906f
	.amdgpu_metadata
---
amdhsa.kernels:
  - .args:
      - .actual_access:  read_only
        .address_space:  global
        .offset:         0
        .size:           8
        .value_kind:     global_buffer
      - .address_space:  global
        .offset:         8
        .size:           8
        .value_kind:     global_buffer
      - .actual_access:  read_only
        .address_space:  global
        .offset:         16
        .size:           8
        .value_kind:     global_buffer
      - .actual_access:  read_only
        .address_space:  global
        .offset:         24
        .size:           8
        .value_kind:     global_buffer
      - .offset:         32
        .size:           8
        .value_kind:     by_value
      - .actual_access:  read_only
        .address_space:  global
        .offset:         40
        .size:           8
        .value_kind:     global_buffer
      - .actual_access:  read_only
        .address_space:  global
        .offset:         48
        .size:           8
        .value_kind:     global_buffer
      - .offset:         56
        .size:           4
        .value_kind:     by_value
      - .actual_access:  read_only
        .address_space:  global
        .offset:         64
        .size:           8
        .value_kind:     global_buffer
      - .actual_access:  read_only
        .address_space:  global
        .offset:         72
        .size:           8
        .value_kind:     global_buffer
      - .address_space:  global
        .offset:         80
        .size:           8
        .value_kind:     global_buffer
    .group_segment_fixed_size: 0
    .kernarg_segment_align: 8
    .kernarg_segment_size: 88
    .language:       OpenCL C
    .language_version:
      - 2
      - 0
    .max_flat_workgroup_size: 189
    .name:           fft_rtc_fwd_len81_factors_3_9_3_wgs_189_tpt_9_dim3_dp_ip_CI_sbcc_twdbase8_3step
    .private_segment_fixed_size: 0
    .sgpr_count:     40
    .sgpr_spill_count: 0
    .symbol:         fft_rtc_fwd_len81_factors_3_9_3_wgs_189_tpt_9_dim3_dp_ip_CI_sbcc_twdbase8_3step.kd
    .uniform_work_group_size: 1
    .uses_dynamic_stack: false
    .vgpr_count:     103
    .vgpr_spill_count: 0
    .wavefront_size: 64
amdhsa.target:   amdgcn-amd-amdhsa--gfx906
amdhsa.version:
  - 1
  - 2
...

	.end_amdgpu_metadata
